;; amdgpu-corpus repo=ROCm/rocFFT kind=compiled arch=gfx1030 opt=O3
	.text
	.amdgcn_target "amdgcn-amd-amdhsa--gfx1030"
	.amdhsa_code_object_version 6
	.protected	fft_rtc_fwd_len1666_factors_17_2_7_7_wgs_119_tpt_119_halfLds_sp_ip_CI_unitstride_sbrr_C2R_dirReg ; -- Begin function fft_rtc_fwd_len1666_factors_17_2_7_7_wgs_119_tpt_119_halfLds_sp_ip_CI_unitstride_sbrr_C2R_dirReg
	.globl	fft_rtc_fwd_len1666_factors_17_2_7_7_wgs_119_tpt_119_halfLds_sp_ip_CI_unitstride_sbrr_C2R_dirReg
	.p2align	8
	.type	fft_rtc_fwd_len1666_factors_17_2_7_7_wgs_119_tpt_119_halfLds_sp_ip_CI_unitstride_sbrr_C2R_dirReg,@function
fft_rtc_fwd_len1666_factors_17_2_7_7_wgs_119_tpt_119_halfLds_sp_ip_CI_unitstride_sbrr_C2R_dirReg: ; @fft_rtc_fwd_len1666_factors_17_2_7_7_wgs_119_tpt_119_halfLds_sp_ip_CI_unitstride_sbrr_C2R_dirReg
; %bb.0:
	s_clause 0x2
	s_load_dwordx4 s[8:11], s[4:5], 0x0
	s_load_dwordx2 s[2:3], s[4:5], 0x50
	s_load_dwordx2 s[12:13], s[4:5], 0x18
	v_mul_u32_u24_e32 v1, 0x227, v0
	v_mov_b32_e32 v3, 0
	v_add_nc_u32_sdwa v5, s6, v1 dst_sel:DWORD dst_unused:UNUSED_PAD src0_sel:DWORD src1_sel:WORD_1
	v_mov_b32_e32 v1, 0
	v_mov_b32_e32 v6, v3
	v_mov_b32_e32 v2, 0
	s_waitcnt lgkmcnt(0)
	v_cmp_lt_u64_e64 s0, s[10:11], 2
	s_and_b32 vcc_lo, exec_lo, s0
	s_cbranch_vccnz .LBB0_8
; %bb.1:
	s_load_dwordx2 s[0:1], s[4:5], 0x10
	v_mov_b32_e32 v1, 0
	s_add_u32 s6, s12, 8
	v_mov_b32_e32 v2, 0
	s_addc_u32 s7, s13, 0
	s_mov_b64 s[16:17], 1
	s_waitcnt lgkmcnt(0)
	s_add_u32 s14, s0, 8
	s_addc_u32 s15, s1, 0
.LBB0_2:                                ; =>This Inner Loop Header: Depth=1
	s_load_dwordx2 s[18:19], s[14:15], 0x0
                                        ; implicit-def: $vgpr7_vgpr8
	s_mov_b32 s0, exec_lo
	s_waitcnt lgkmcnt(0)
	v_or_b32_e32 v4, s19, v6
	v_cmpx_ne_u64_e32 0, v[3:4]
	s_xor_b32 s1, exec_lo, s0
	s_cbranch_execz .LBB0_4
; %bb.3:                                ;   in Loop: Header=BB0_2 Depth=1
	v_cvt_f32_u32_e32 v4, s18
	v_cvt_f32_u32_e32 v7, s19
	s_sub_u32 s0, 0, s18
	s_subb_u32 s20, 0, s19
	v_fmac_f32_e32 v4, 0x4f800000, v7
	v_rcp_f32_e32 v4, v4
	v_mul_f32_e32 v4, 0x5f7ffffc, v4
	v_mul_f32_e32 v7, 0x2f800000, v4
	v_trunc_f32_e32 v7, v7
	v_fmac_f32_e32 v4, 0xcf800000, v7
	v_cvt_u32_f32_e32 v7, v7
	v_cvt_u32_f32_e32 v4, v4
	v_mul_lo_u32 v8, s0, v7
	v_mul_hi_u32 v9, s0, v4
	v_mul_lo_u32 v10, s20, v4
	v_add_nc_u32_e32 v8, v9, v8
	v_mul_lo_u32 v9, s0, v4
	v_add_nc_u32_e32 v8, v8, v10
	v_mul_hi_u32 v10, v4, v9
	v_mul_lo_u32 v11, v4, v8
	v_mul_hi_u32 v12, v4, v8
	v_mul_hi_u32 v13, v7, v9
	v_mul_lo_u32 v9, v7, v9
	v_mul_hi_u32 v14, v7, v8
	v_mul_lo_u32 v8, v7, v8
	v_add_co_u32 v10, vcc_lo, v10, v11
	v_add_co_ci_u32_e32 v11, vcc_lo, 0, v12, vcc_lo
	v_add_co_u32 v9, vcc_lo, v10, v9
	v_add_co_ci_u32_e32 v9, vcc_lo, v11, v13, vcc_lo
	v_add_co_ci_u32_e32 v10, vcc_lo, 0, v14, vcc_lo
	v_add_co_u32 v8, vcc_lo, v9, v8
	v_add_co_ci_u32_e32 v9, vcc_lo, 0, v10, vcc_lo
	v_add_co_u32 v4, vcc_lo, v4, v8
	v_add_co_ci_u32_e32 v7, vcc_lo, v7, v9, vcc_lo
	v_mul_hi_u32 v8, s0, v4
	v_mul_lo_u32 v10, s20, v4
	v_mul_lo_u32 v9, s0, v7
	v_add_nc_u32_e32 v8, v8, v9
	v_mul_lo_u32 v9, s0, v4
	v_add_nc_u32_e32 v8, v8, v10
	v_mul_hi_u32 v10, v4, v9
	v_mul_lo_u32 v11, v4, v8
	v_mul_hi_u32 v12, v4, v8
	v_mul_hi_u32 v13, v7, v9
	v_mul_lo_u32 v9, v7, v9
	v_mul_hi_u32 v14, v7, v8
	v_mul_lo_u32 v8, v7, v8
	v_add_co_u32 v10, vcc_lo, v10, v11
	v_add_co_ci_u32_e32 v11, vcc_lo, 0, v12, vcc_lo
	v_add_co_u32 v9, vcc_lo, v10, v9
	v_add_co_ci_u32_e32 v9, vcc_lo, v11, v13, vcc_lo
	v_add_co_ci_u32_e32 v10, vcc_lo, 0, v14, vcc_lo
	v_add_co_u32 v8, vcc_lo, v9, v8
	v_add_co_ci_u32_e32 v9, vcc_lo, 0, v10, vcc_lo
	v_add_co_u32 v4, vcc_lo, v4, v8
	v_add_co_ci_u32_e32 v11, vcc_lo, v7, v9, vcc_lo
	v_mul_hi_u32 v13, v5, v4
	v_mad_u64_u32 v[9:10], null, v6, v4, 0
	v_mad_u64_u32 v[7:8], null, v5, v11, 0
	;; [unrolled: 1-line block ×3, first 2 shown]
	v_add_co_u32 v4, vcc_lo, v13, v7
	v_add_co_ci_u32_e32 v7, vcc_lo, 0, v8, vcc_lo
	v_add_co_u32 v4, vcc_lo, v4, v9
	v_add_co_ci_u32_e32 v4, vcc_lo, v7, v10, vcc_lo
	v_add_co_ci_u32_e32 v7, vcc_lo, 0, v12, vcc_lo
	v_add_co_u32 v4, vcc_lo, v4, v11
	v_add_co_ci_u32_e32 v9, vcc_lo, 0, v7, vcc_lo
	v_mul_lo_u32 v10, s19, v4
	v_mad_u64_u32 v[7:8], null, s18, v4, 0
	v_mul_lo_u32 v11, s18, v9
	v_sub_co_u32 v7, vcc_lo, v5, v7
	v_add3_u32 v8, v8, v11, v10
	v_sub_nc_u32_e32 v10, v6, v8
	v_subrev_co_ci_u32_e64 v10, s0, s19, v10, vcc_lo
	v_add_co_u32 v11, s0, v4, 2
	v_add_co_ci_u32_e64 v12, s0, 0, v9, s0
	v_sub_co_u32 v13, s0, v7, s18
	v_sub_co_ci_u32_e32 v8, vcc_lo, v6, v8, vcc_lo
	v_subrev_co_ci_u32_e64 v10, s0, 0, v10, s0
	v_cmp_le_u32_e32 vcc_lo, s18, v13
	v_cmp_eq_u32_e64 s0, s19, v8
	v_cndmask_b32_e64 v13, 0, -1, vcc_lo
	v_cmp_le_u32_e32 vcc_lo, s19, v10
	v_cndmask_b32_e64 v14, 0, -1, vcc_lo
	v_cmp_le_u32_e32 vcc_lo, s18, v7
	;; [unrolled: 2-line block ×3, first 2 shown]
	v_cndmask_b32_e64 v15, 0, -1, vcc_lo
	v_cmp_eq_u32_e32 vcc_lo, s19, v10
	v_cndmask_b32_e64 v7, v15, v7, s0
	v_cndmask_b32_e32 v10, v14, v13, vcc_lo
	v_add_co_u32 v13, vcc_lo, v4, 1
	v_add_co_ci_u32_e32 v14, vcc_lo, 0, v9, vcc_lo
	v_cmp_ne_u32_e32 vcc_lo, 0, v10
	v_cndmask_b32_e32 v8, v14, v12, vcc_lo
	v_cndmask_b32_e32 v10, v13, v11, vcc_lo
	v_cmp_ne_u32_e32 vcc_lo, 0, v7
	v_cndmask_b32_e32 v8, v9, v8, vcc_lo
	v_cndmask_b32_e32 v7, v4, v10, vcc_lo
.LBB0_4:                                ;   in Loop: Header=BB0_2 Depth=1
	s_andn2_saveexec_b32 s0, s1
	s_cbranch_execz .LBB0_6
; %bb.5:                                ;   in Loop: Header=BB0_2 Depth=1
	v_cvt_f32_u32_e32 v4, s18
	s_sub_i32 s1, 0, s18
	v_rcp_iflag_f32_e32 v4, v4
	v_mul_f32_e32 v4, 0x4f7ffffe, v4
	v_cvt_u32_f32_e32 v4, v4
	v_mul_lo_u32 v7, s1, v4
	v_mul_hi_u32 v7, v4, v7
	v_add_nc_u32_e32 v4, v4, v7
	v_mul_hi_u32 v4, v5, v4
	v_mul_lo_u32 v7, v4, s18
	v_add_nc_u32_e32 v8, 1, v4
	v_sub_nc_u32_e32 v7, v5, v7
	v_subrev_nc_u32_e32 v9, s18, v7
	v_cmp_le_u32_e32 vcc_lo, s18, v7
	v_cndmask_b32_e32 v7, v7, v9, vcc_lo
	v_cndmask_b32_e32 v4, v4, v8, vcc_lo
	v_cmp_le_u32_e32 vcc_lo, s18, v7
	v_add_nc_u32_e32 v8, 1, v4
	v_cndmask_b32_e32 v7, v4, v8, vcc_lo
	v_mov_b32_e32 v8, v3
.LBB0_6:                                ;   in Loop: Header=BB0_2 Depth=1
	s_or_b32 exec_lo, exec_lo, s0
	s_load_dwordx2 s[0:1], s[6:7], 0x0
	v_mul_lo_u32 v4, v8, s18
	v_mul_lo_u32 v11, v7, s19
	v_mad_u64_u32 v[9:10], null, v7, s18, 0
	s_add_u32 s16, s16, 1
	s_addc_u32 s17, s17, 0
	s_add_u32 s6, s6, 8
	s_addc_u32 s7, s7, 0
	;; [unrolled: 2-line block ×3, first 2 shown]
	v_add3_u32 v4, v10, v11, v4
	v_sub_co_u32 v5, vcc_lo, v5, v9
	v_sub_co_ci_u32_e32 v4, vcc_lo, v6, v4, vcc_lo
	s_waitcnt lgkmcnt(0)
	v_mul_lo_u32 v6, s1, v5
	v_mul_lo_u32 v4, s0, v4
	v_mad_u64_u32 v[1:2], null, s0, v5, v[1:2]
	v_cmp_ge_u64_e64 s0, s[16:17], s[10:11]
	s_and_b32 vcc_lo, exec_lo, s0
	v_add3_u32 v2, v6, v2, v4
	s_cbranch_vccnz .LBB0_9
; %bb.7:                                ;   in Loop: Header=BB0_2 Depth=1
	v_mov_b32_e32 v5, v7
	v_mov_b32_e32 v6, v8
	s_branch .LBB0_2
.LBB0_8:
	v_mov_b32_e32 v8, v6
	v_mov_b32_e32 v7, v5
.LBB0_9:
	s_lshl_b64 s[0:1], s[10:11], 3
	v_mul_hi_u32 v5, 0x226b903, v0
	s_add_u32 s0, s12, s0
	s_addc_u32 s1, s13, s1
	s_load_dwordx2 s[0:1], s[0:1], 0x0
	s_load_dwordx2 s[4:5], s[4:5], 0x20
	s_waitcnt lgkmcnt(0)
	v_mul_lo_u32 v3, s0, v8
	v_mul_lo_u32 v4, s1, v7
	v_mad_u64_u32 v[1:2], null, s0, v7, v[1:2]
	v_cmp_gt_u64_e32 vcc_lo, s[4:5], v[7:8]
	v_add3_u32 v2, v4, v2, v3
	v_mul_u32_u24_e32 v3, 0x77, v5
	v_lshlrev_b64 v[34:35], 3, v[1:2]
	v_sub_nc_u32_e32 v32, v0, v3
	s_and_saveexec_b32 s1, vcc_lo
	s_cbranch_execz .LBB0_13
; %bb.10:
	v_mov_b32_e32 v33, 0
	v_add_co_u32 v0, s0, s2, v34
	v_add_co_ci_u32_e64 v1, s0, s3, v35, s0
	v_lshlrev_b64 v[2:3], 3, v[32:33]
	v_lshl_add_u32 v30, v32, 3, 0
	s_mov_b32 s4, exec_lo
	v_add_nc_u32_e32 v31, 0x400, v30
	v_add_co_u32 v2, s0, v0, v2
	v_add_co_ci_u32_e64 v3, s0, v1, v3, s0
	v_add_nc_u32_e32 v36, 0xc00, v30
	v_add_co_u32 v4, s0, 0x800, v2
	v_add_co_ci_u32_e64 v5, s0, 0, v3, s0
	v_add_co_u32 v6, s0, 0x1000, v2
	v_add_co_ci_u32_e64 v7, s0, 0, v3, s0
	;; [unrolled: 2-line block ×5, first 2 shown]
	s_clause 0x7
	global_load_dwordx2 v[10:11], v[2:3], off
	global_load_dwordx2 v[12:13], v[2:3], off offset:952
	global_load_dwordx2 v[14:15], v[2:3], off offset:1904
	;; [unrolled: 1-line block ×7, first 2 shown]
	v_add_co_u32 v2, s0, 0x3000, v2
	v_add_co_ci_u32_e64 v3, s0, 0, v3, s0
	s_clause 0x5
	global_load_dwordx2 v[8:9], v[8:9], off offset:1472
	global_load_dwordx2 v[26:27], v[22:23], off offset:376
	;; [unrolled: 1-line block ×6, first 2 shown]
	v_add_nc_u32_e32 v37, 0x1400, v30
	v_add_nc_u32_e32 v38, 0x1c00, v30
	;; [unrolled: 1-line block ×4, first 2 shown]
	s_waitcnt vmcnt(12)
	ds_write2_b64 v30, v[10:11], v[12:13] offset1:119
	s_waitcnt vmcnt(10)
	ds_write2_b64 v31, v[14:15], v[16:17] offset0:110 offset1:229
	s_waitcnt vmcnt(8)
	ds_write2_b64 v36, v[4:5], v[18:19] offset0:92 offset1:211
	;; [unrolled: 2-line block ×6, first 2 shown]
	v_cmpx_eq_u32_e32 0x76, v32
	s_cbranch_execz .LBB0_12
; %bb.11:
	v_add_co_u32 v0, s0, 0x3000, v0
	v_add_co_ci_u32_e64 v1, s0, 0, v1, s0
	v_mov_b32_e32 v32, 0x76
	global_load_dwordx2 v[0:1], v[0:1], off offset:1040
	s_waitcnt vmcnt(0)
	ds_write_b64 v33, v[0:1] offset:13328
.LBB0_12:
	s_or_b32 exec_lo, exec_lo, s4
.LBB0_13:
	s_or_b32 exec_lo, exec_lo, s1
	v_lshlrev_b32_e32 v0, 3, v32
	s_waitcnt lgkmcnt(0)
	s_barrier
	buffer_gl0_inv
	s_add_u32 s1, s8, 0x3388
	v_add_nc_u32_e32 v38, 0, v0
	v_sub_nc_u32_e32 v4, 0, v0
	s_addc_u32 s4, s9, 0
	s_mov_b32 s5, exec_lo
                                        ; implicit-def: $vgpr2_vgpr3
	ds_read_b32 v5, v38
	ds_read_b32 v6, v4 offset:13328
	s_waitcnt lgkmcnt(0)
	v_add_f32_e32 v0, v6, v5
	v_sub_f32_e32 v1, v5, v6
	v_cmpx_ne_u32_e32 0, v32
	s_xor_b32 s5, exec_lo, s5
	s_cbranch_execz .LBB0_15
; %bb.14:
	v_mov_b32_e32 v33, 0
	v_add_f32_e32 v7, v6, v5
	v_sub_f32_e32 v8, v5, v6
	v_lshlrev_b64 v[0:1], 3, v[32:33]
	v_add_co_u32 v0, s0, s1, v0
	v_add_co_ci_u32_e64 v1, s0, s4, v1, s0
	global_load_dwordx2 v[2:3], v[0:1], off
	ds_read_b32 v0, v4 offset:13332
	ds_read_b32 v1, v38 offset:4
	s_waitcnt lgkmcnt(0)
	v_add_f32_e32 v9, v0, v1
	v_sub_f32_e32 v0, v1, v0
	s_waitcnt vmcnt(0)
	v_fma_f32 v5, -v8, v3, v7
	v_fma_f32 v6, v9, v3, -v0
	v_fma_f32 v10, v8, v3, v7
	v_fma_f32 v1, v9, v3, v0
	v_fmac_f32_e32 v5, v2, v9
	v_fmac_f32_e32 v6, v8, v2
	v_fma_f32 v0, -v2, v9, v10
	v_fmac_f32_e32 v1, v8, v2
	v_mov_b32_e32 v2, v32
	v_mov_b32_e32 v3, v33
	ds_write_b64 v4, v[5:6] offset:13328
.LBB0_15:
	s_andn2_saveexec_b32 s0, s5
	s_cbranch_execz .LBB0_17
; %bb.16:
	v_mov_b32_e32 v7, 0
	ds_read_b64 v[2:3], v7 offset:6664
	s_waitcnt lgkmcnt(0)
	v_add_f32_e32 v5, v2, v2
	v_mul_f32_e32 v6, -2.0, v3
	v_mov_b32_e32 v2, 0
	v_mov_b32_e32 v3, 0
	ds_write_b64 v7, v[5:6] offset:6664
.LBB0_17:
	s_or_b32 exec_lo, exec_lo, s0
	v_lshlrev_b64 v[2:3], 3, v[2:3]
	v_add_nc_u32_e32 v33, 0x400, v38
	v_add_nc_u32_e32 v39, 0x1c00, v38
	;; [unrolled: 1-line block ×3, first 2 shown]
	v_add_co_u32 v2, s0, s1, v2
	v_add_co_ci_u32_e64 v3, s0, s4, v3, s0
	s_mov_b32 s1, exec_lo
	v_add_co_u32 v9, s0, 0x800, v2
	s_clause 0x1
	global_load_dwordx2 v[5:6], v[2:3], off offset:952
	global_load_dwordx2 v[7:8], v[2:3], off offset:1904
	v_add_co_ci_u32_e64 v10, s0, 0, v3, s0
	v_add_co_u32 v2, s0, 0x1000, v2
	s_clause 0x1
	global_load_dwordx2 v[11:12], v[9:10], off offset:808
	global_load_dwordx2 v[9:10], v[9:10], off offset:1760
	v_add_co_ci_u32_e64 v3, s0, 0, v3, s0
	s_clause 0x1
	global_load_dwordx2 v[13:14], v[2:3], off offset:664
	global_load_dwordx2 v[2:3], v[2:3], off offset:1616
	ds_write_b64 v38, v[0:1]
	ds_read_b64 v[0:1], v38 offset:952
	ds_read_b64 v[15:16], v4 offset:12376
	s_waitcnt lgkmcnt(0)
	v_add_f32_e32 v17, v0, v15
	v_add_f32_e32 v18, v16, v1
	v_sub_f32_e32 v19, v0, v15
	v_sub_f32_e32 v0, v1, v16
	s_waitcnt vmcnt(5)
	v_fma_f32 v20, v19, v6, v17
	v_fma_f32 v1, v18, v6, v0
	v_fma_f32 v15, -v19, v6, v17
	v_fma_f32 v16, v18, v6, -v0
	v_fma_f32 v0, -v5, v18, v20
	v_fmac_f32_e32 v1, v19, v5
	v_fmac_f32_e32 v15, v5, v18
	v_fmac_f32_e32 v16, v19, v5
	ds_write_b64 v38, v[0:1] offset:952
	ds_write_b64 v4, v[15:16] offset:12376
	ds_read_b64 v[0:1], v38 offset:1904
	ds_read_b64 v[5:6], v4 offset:11424
	s_waitcnt lgkmcnt(0)
	v_add_f32_e32 v15, v0, v5
	v_add_f32_e32 v16, v6, v1
	v_sub_f32_e32 v17, v0, v5
	v_sub_f32_e32 v0, v1, v6
	s_waitcnt vmcnt(4)
	v_fma_f32 v18, v17, v8, v15
	v_fma_f32 v1, v16, v8, v0
	v_fma_f32 v5, -v17, v8, v15
	v_fma_f32 v6, v16, v8, -v0
	v_fma_f32 v0, -v7, v16, v18
	v_fmac_f32_e32 v1, v17, v7
	v_fmac_f32_e32 v5, v7, v16
	v_fmac_f32_e32 v6, v17, v7
	ds_write_b64 v38, v[0:1] offset:1904
	ds_write_b64 v4, v[5:6] offset:11424
	;; [unrolled: 18-line block ×4, first 2 shown]
	ds_read_b64 v[0:1], v38 offset:4760
	ds_read_b64 v[5:6], v4 offset:8568
	v_add_nc_u32_e32 v11, 0x1000, v38
	s_waitcnt lgkmcnt(0)
	v_add_f32_e32 v7, v0, v5
	v_add_f32_e32 v8, v6, v1
	v_sub_f32_e32 v9, v0, v5
	v_sub_f32_e32 v0, v1, v6
	s_waitcnt vmcnt(1)
	v_fma_f32 v10, v9, v14, v7
	v_fma_f32 v1, v8, v14, v0
	v_fma_f32 v5, -v9, v14, v7
	v_fma_f32 v6, v8, v14, -v0
	v_fma_f32 v0, -v13, v8, v10
	v_fmac_f32_e32 v1, v9, v13
	v_fmac_f32_e32 v5, v13, v8
	;; [unrolled: 1-line block ×3, first 2 shown]
	ds_write_b64 v38, v[0:1] offset:4760
	ds_write_b64 v4, v[5:6] offset:8568
	ds_read_b64 v[0:1], v38 offset:5712
	ds_read_b64 v[5:6], v4 offset:7616
	v_add_nc_u32_e32 v10, 0x800, v38
	s_waitcnt lgkmcnt(0)
	v_add_f32_e32 v7, v0, v5
	v_add_f32_e32 v8, v6, v1
	v_sub_f32_e32 v9, v0, v5
	v_sub_f32_e32 v0, v1, v6
	s_waitcnt vmcnt(0)
	v_fma_f32 v12, v9, v3, v7
	v_fma_f32 v1, v8, v3, v0
	v_fma_f32 v5, -v9, v3, v7
	v_fma_f32 v6, v8, v3, -v0
	v_add_nc_u32_e32 v3, 0x1800, v38
	v_fma_f32 v0, -v2, v8, v12
	v_fmac_f32_e32 v1, v9, v2
	v_fmac_f32_e32 v5, v2, v8
	v_fmac_f32_e32 v6, v9, v2
	v_add_nc_u32_e32 v8, 0x2000, v38
	ds_write_b64 v38, v[0:1] offset:5712
	ds_write_b64 v4, v[5:6] offset:7616
	s_waitcnt lgkmcnt(0)
	s_barrier
	buffer_gl0_inv
	s_barrier
	buffer_gl0_inv
	ds_read2_b64 v[4:7], v38 offset1:98
	ds_read2_b64 v[28:31], v33 offset0:68 offset1:166
	ds_read2_b64 v[24:27], v10 offset0:136 offset1:234
	;; [unrolled: 1-line block ×7, first 2 shown]
	ds_read_b64 v[36:37], v38 offset:12544
	s_waitcnt lgkmcnt(0)
	s_barrier
	buffer_gl0_inv
	v_cmpx_gt_u32_e32 0x62, v32
	s_cbranch_execz .LBB0_19
; %bb.18:
	v_add_f32_e32 v41, v5, v7
	v_add_f32_e32 v42, v4, v6
	;; [unrolled: 1-line block ×3, first 2 shown]
	v_sub_f32_e32 v53, v28, v10
	v_sub_f32_e32 v52, v30, v8
	v_add_f32_e32 v41, v41, v29
	v_add_f32_e32 v42, v42, v28
	;; [unrolled: 1-line block ×3, first 2 shown]
	v_sub_f32_e32 v51, v24, v14
	v_sub_f32_e32 v50, v26, v12
	v_add_f32_e32 v41, v41, v31
	v_add_f32_e32 v42, v42, v30
	v_sub_f32_e32 v49, v20, v18
	v_sub_f32_e32 v48, v22, v16
	v_add_f32_e32 v43, v13, v27
	v_add_f32_e32 v41, v41, v25
	;; [unrolled: 1-line block ×5, first 2 shown]
	v_sub_f32_e32 v56, v6, v36
	v_add_f32_e32 v54, v41, v27
	v_add_f32_e32 v47, v47, v26
	;; [unrolled: 1-line block ×3, first 2 shown]
	v_sub_f32_e32 v27, v27, v13
	v_mul_f32_e32 v57, 0xbf1a4643, v55
	v_add_f32_e32 v59, v54, v21
	v_add_f32_e32 v60, v47, v20
	v_add_f32_e32 v47, v10, v28
	v_sub_f32_e32 v54, v29, v11
	v_add_f32_e32 v29, v8, v30
	v_add_f32_e32 v59, v59, v23
	v_add_f32_e32 v60, v60, v22
	v_add_f32_e32 v28, v14, v24
	v_sub_f32_e32 v30, v25, v15
	v_add_f32_e32 v25, v12, v26
	;; [unrolled: 5-line block ×3, first 2 shown]
	v_add_f32_e32 v59, v59, v3
	v_add_f32_e32 v60, v60, v2
	v_sub_f32_e32 v21, v23, v17
	v_add_f32_e32 v45, v9, v31
	v_sub_f32_e32 v7, v7, v37
	v_add_f32_e32 v17, v59, v17
	v_add_f32_e32 v16, v60, v16
	v_sub_f32_e32 v31, v31, v9
	v_mul_f32_e32 v22, 0xbf7ba420, v55
	v_fmamk_f32 v58, v56, 0x3f4c4adb, v57
	v_add_f32_e32 v17, v17, v19
	v_add_f32_e32 v16, v16, v18
	;; [unrolled: 1-line block ×3, first 2 shown]
	v_mul_f32_e32 v23, 0xbf4c4adb, v7
	v_fmamk_f32 v18, v56, 0x3e3c28d5, v22
	v_add_f32_e32 v13, v17, v13
	v_add_f32_e32 v12, v16, v12
	v_mul_f32_e32 v59, 0xbf06c442, v56
	v_fmac_f32_e32 v22, 0xbe3c28d5, v56
	v_mul_f32_e32 v16, 0xbf763a35, v56
	v_add_f32_e32 v13, v13, v15
	v_add_f32_e32 v12, v12, v14
	v_mul_f32_e32 v15, 0xbf7ee86f, v56
	v_fmac_f32_e32 v57, 0xbf4c4adb, v56
	v_mul_f32_e32 v68, 0xbf763a35, v7
	v_add_f32_e32 v9, v13, v9
	v_add_f32_e32 v8, v12, v8
	v_mul_f32_e32 v12, 0xbf65296c, v56
	v_mul_f32_e32 v13, 0xbf2c7751, v56
	;; [unrolled: 1-line block ×3, first 2 shown]
	v_add_f32_e32 v9, v9, v11
	v_add_f32_e32 v8, v8, v10
	v_fmamk_f32 v10, v55, 0x3dbcf732, v15
	v_fmamk_f32 v11, v55, 0x3ee437d1, v12
	v_mul_f32_e32 v19, 0xbe3c28d5, v7
	v_fmamk_f32 v17, v55, 0xbf59a7d5, v59
	v_fmamk_f32 v14, v55, 0xbe8c1d8e, v16
	;; [unrolled: 1-line block ×3, first 2 shown]
	v_fma_f32 v15, 0x3dbcf732, v55, -v15
	v_fma_f32 v62, 0x3f6eb680, v55, -v56
	v_fmamk_f32 v56, v6, 0xbf1a4643, v23
	v_mul_f32_e32 v67, 0xbf06c442, v7
	v_mul_f32_e32 v69, 0xbf7ee86f, v7
	;; [unrolled: 1-line block ×5, first 2 shown]
	v_fma_f32 v64, 0xbe8c1d8e, v6, -v68
	v_add_f32_e32 v85, v5, v10
	v_add_f32_e32 v87, v5, v11
	v_mul_f32_e32 v10, 0xbe8c1d8e, v46
	v_mul_f32_e32 v11, 0x3f763a35, v54
	v_fmamk_f32 v60, v55, 0x3f3d2fb0, v13
	v_fma_f32 v59, 0xbf59a7d5, v55, -v59
	v_fma_f32 v16, 0xbe8c1d8e, v55, -v16
	;; [unrolled: 1-line block ×4, first 2 shown]
	v_fmamk_f32 v55, v6, 0xbf7ba420, v19
	v_fma_f32 v19, 0xbf7ba420, v6, -v19
	v_fma_f32 v23, 0xbf1a4643, v6, -v23
	;; [unrolled: 1-line block ×3, first 2 shown]
	v_fmac_f32_e32 v67, 0xbf59a7d5, v6
	v_fmac_f32_e32 v68, 0xbe8c1d8e, v6
	v_fma_f32 v65, 0x3dbcf732, v6, -v69
	v_fmac_f32_e32 v69, 0x3dbcf732, v6
	v_fma_f32 v66, 0x3ee437d1, v6, -v70
	;; [unrolled: 2-line block ×4, first 2 shown]
	v_fmac_f32_e32 v7, 0x3f6eb680, v6
	v_add_f32_e32 v6, v5, v58
	v_add_f32_e32 v74, v4, v56
	v_add_f32_e32 v79, v5, v17
	v_add_f32_e32 v83, v5, v14
	v_add_f32_e32 v84, v4, v64
	v_add_f32_e32 v64, v5, v61
	v_add_f32_e32 v56, v5, v15
	v_add_f32_e32 v17, v5, v62
	v_add_f32_e32 v14, v3, v1
	v_sub_f32_e32 v62, v0, v2
	v_add_f32_e32 v15, v2, v0
	v_sub_f32_e32 v61, v1, v3
	v_add_f32_e32 v1, v9, v37
	v_fmamk_f32 v2, v53, 0xbf763a35, v10
	v_mul_f32_e32 v9, 0x3f6eb680, v45
	v_add_f32_e32 v0, v8, v36
	v_fmamk_f32 v3, v47, 0xbe8c1d8e, v11
	v_mul_f32_e32 v8, 0xbeb8f4ab, v31
	v_add_f32_e32 v75, v5, v18
	v_add_f32_e32 v76, v4, v55
	;; [unrolled: 1-line block ×23, first 2 shown]
	v_fmamk_f32 v4, v52, 0x3eb8f4ab, v9
	v_mul_f32_e32 v12, 0xbf59a7d5, v44
	v_add_f32_e32 v3, v3, v74
	v_fmamk_f32 v5, v29, 0x3f6eb680, v8
	v_mul_f32_e32 v13, 0xbf06c442, v30
	v_add_f32_e32 v2, v4, v2
	;; [unrolled: 3-line block ×17, first 2 shown]
	v_fmamk_f32 v76, v28, 0x3f3d2fb0, v90
	v_mul_f32_e32 v92, 0xbf4c4adb, v27
	v_mul_f32_e32 v93, 0x3f65296c, v61
	v_add_f32_e32 v4, v73, v4
	v_fmamk_f32 v73, v49, 0xbf65296c, v91
	v_add_f32_e32 v2, v76, v2
	v_fmamk_f32 v76, v25, 0xbf1a4643, v92
	v_mul_f32_e32 v94, 0x3f65296c, v26
	v_fmamk_f32 v95, v15, 0x3ee437d1, v93
	v_mul_f32_e32 v96, 0xbe8c1d8e, v41
	v_add_f32_e32 v4, v73, v4
	v_add_f32_e32 v73, v76, v2
	v_fmamk_f32 v76, v24, 0x3ee437d1, v94
	v_mul_f32_e32 v97, 0xbf763a35, v21
	v_fmac_f32_e32 v6, 0x3eb8f4ab, v53
	v_fmamk_f32 v98, v48, 0x3f763a35, v96
	v_add_f32_e32 v2, v95, v5
	v_add_f32_e32 v5, v76, v73
	v_fmamk_f32 v73, v20, 0xbe8c1d8e, v97
	v_fma_f32 v72, 0x3f6eb680, v47, -v72
	v_add_f32_e32 v6, v6, v77
	v_fmac_f32_e32 v7, 0xbf06c442, v52
	v_mul_f32_e32 v76, 0x3dbcf732, v14
	v_add_f32_e32 v4, v98, v4
	v_add_f32_e32 v73, v73, v5
	;; [unrolled: 1-line block ×3, first 2 shown]
	v_fma_f32 v72, 0xbf59a7d5, v29, -v75
	v_add_f32_e32 v6, v7, v6
	v_fmamk_f32 v7, v62, 0xbf7ee86f, v76
	v_mul_f32_e32 v75, 0x3f7ee86f, v61
	v_fma_f32 v77, 0x3f3d2fb0, v28, -v90
	v_add_f32_e32 v72, v72, v5
	v_fmac_f32_e32 v74, 0x3f2c7751, v51
	v_add_f32_e32 v5, v7, v4
	v_fmamk_f32 v4, v15, 0x3dbcf732, v75
	v_fmac_f32_e32 v89, 0xbf4c4adb, v50
	v_add_f32_e32 v7, v77, v72
	v_fma_f32 v72, 0xbf1a4643, v25, -v92
	v_add_f32_e32 v6, v74, v6
	v_add_f32_e32 v4, v4, v73
	v_mul_f32_e32 v73, 0x3f65296c, v53
	v_mul_f32_e32 v77, 0xbf7ee86f, v52
	v_add_f32_e32 v7, v72, v7
	v_fma_f32 v72, 0x3ee437d1, v24, -v94
	v_add_f32_e32 v6, v89, v6
	v_fmamk_f32 v74, v46, 0x3ee437d1, v73
	v_fmac_f32_e32 v91, 0x3f65296c, v49
	v_fmamk_f32 v78, v45, 0x3dbcf732, v77
	v_add_f32_e32 v7, v72, v7
	v_fma_f32 v72, 0xbe8c1d8e, v20, -v97
	v_add_f32_e32 v74, v74, v79
	v_mul_f32_e32 v79, 0x3f4c4adb, v51
	v_mul_f32_e32 v89, 0x3f65296c, v54
	v_add_f32_e32 v6, v91, v6
	v_add_f32_e32 v72, v72, v7
	;; [unrolled: 1-line block ×3, first 2 shown]
	v_fmamk_f32 v74, v44, 0xbf1a4643, v79
	v_mul_f32_e32 v78, 0xbeb8f4ab, v50
	v_fma_f32 v90, 0x3ee437d1, v47, -v89
	v_mul_f32_e32 v91, 0xbf7ee86f, v31
	v_fmac_f32_e32 v96, 0xbf763a35, v48
	v_add_f32_e32 v7, v74, v7
	v_fmamk_f32 v74, v43, 0x3f6eb680, v78
	v_mul_f32_e32 v92, 0xbe3c28d5, v49
	v_add_f32_e32 v80, v90, v80
	v_fma_f32 v90, 0x3dbcf732, v29, -v91
	v_mul_f32_e32 v94, 0x3f4c4adb, v30
	v_add_f32_e32 v6, v96, v6
	v_fmac_f32_e32 v76, 0x3f7ee86f, v62
	v_add_f32_e32 v74, v74, v7
	v_fmamk_f32 v95, v42, 0xbf7ba420, v92
	v_mul_f32_e32 v96, 0x3f2c7751, v48
	v_add_f32_e32 v80, v90, v80
	v_fma_f32 v90, 0xbf1a4643, v28, -v94
	v_mul_f32_e32 v97, 0xbeb8f4ab, v27
	v_fmac_f32_e32 v10, 0x3f763a35, v53
	v_fma_f32 v75, 0x3dbcf732, v15, -v75
	v_add_f32_e32 v7, v76, v6
	v_add_f32_e32 v74, v95, v74
	v_fmamk_f32 v76, v41, 0x3f3d2fb0, v96
	v_add_f32_e32 v80, v90, v80
	v_fma_f32 v90, 0x3f6eb680, v25, -v97
	v_mul_f32_e32 v95, 0xbe3c28d5, v26
	v_fma_f32 v11, 0xbe8c1d8e, v47, -v11
	v_add_f32_e32 v10, v10, v81
	v_fmac_f32_e32 v9, 0xbeb8f4ab, v52
	v_add_f32_e32 v6, v75, v72
	v_add_f32_e32 v72, v76, v74
	;; [unrolled: 1-line block ×3, first 2 shown]
	v_fma_f32 v75, 0xbf7ba420, v24, -v95
	v_mul_f32_e32 v76, 0x3f2c7751, v21
	v_add_f32_e32 v11, v11, v82
	v_fma_f32 v8, 0x3f6eb680, v29, -v8
	v_add_f32_e32 v9, v9, v10
	v_fmac_f32_e32 v12, 0xbf06c442, v51
	v_add_f32_e32 v74, v75, v74
	v_fma_f32 v75, 0x3f3d2fb0, v20, -v76
	v_mul_f32_e32 v80, 0xbf763a35, v62
	v_add_f32_e32 v8, v8, v11
	v_fma_f32 v10, 0xbf59a7d5, v28, -v13
	v_add_f32_e32 v9, v12, v9
	v_fmac_f32_e32 v36, 0x3f7ee86f, v50
	v_add_f32_e32 v11, v75, v74
	v_fmamk_f32 v12, v14, 0xbe8c1d8e, v80
	v_add_f32_e32 v8, v10, v8
	v_fma_f32 v10, 0x3dbcf732, v25, -v37
	v_mul_f32_e32 v74, 0xbf763a35, v61
	v_add_f32_e32 v13, v36, v9
	v_fmac_f32_e32 v67, 0xbf2c7751, v49
	v_add_f32_e32 v9, v12, v72
	v_add_f32_e32 v8, v10, v8
	v_fma_f32 v10, 0x3f3d2fb0, v24, -v68
	v_fma_f32 v12, 0xbe8c1d8e, v15, -v74
	v_add_f32_e32 v13, v67, v13
	v_mul_f32_e32 v72, 0x3f06c442, v53
	v_fmac_f32_e32 v69, 0xbe3c28d5, v48
	v_add_f32_e32 v10, v10, v8
	v_fma_f32 v36, 0xbf7ba420, v20, -v70
	v_add_f32_e32 v8, v12, v11
	v_fmamk_f32 v11, v46, 0xbf59a7d5, v72
	v_mul_f32_e32 v70, 0x3f2c7751, v52
	v_add_f32_e32 v12, v69, v13
	v_mul_f32_e32 v69, 0x3f06c442, v54
	v_add_f32_e32 v10, v36, v10
	v_add_f32_e32 v11, v11, v83
	v_fmamk_f32 v13, v45, 0x3f3d2fb0, v70
	v_mul_f32_e32 v75, 0xbf65296c, v51
	v_fma_f32 v36, 0xbf59a7d5, v47, -v69
	v_mul_f32_e32 v81, 0x3f2c7751, v31
	v_fmac_f32_e32 v71, 0x3f65296c, v62
	v_add_f32_e32 v11, v13, v11
	v_fmamk_f32 v13, v44, 0x3ee437d1, v75
	v_mul_f32_e32 v82, 0xbe3c28d5, v50
	v_add_f32_e32 v36, v36, v84
	v_fma_f32 v37, 0x3f3d2fb0, v29, -v81
	v_mul_f32_e32 v83, 0xbf65296c, v30
	v_add_f32_e32 v13, v13, v11
	v_fmamk_f32 v68, v43, 0xbf7ba420, v82
	v_mul_f32_e32 v84, 0xbe3c28d5, v27
	v_add_f32_e32 v36, v37, v36
	v_fma_f32 v37, 0x3ee437d1, v28, -v83
	v_add_f32_e32 v11, v71, v12
	v_mul_f32_e32 v71, 0x3f7ee86f, v49
	v_fma_f32 v67, 0x3ee437d1, v15, -v93
	v_add_f32_e32 v12, v68, v13
	v_add_f32_e32 v13, v37, v36
	v_fma_f32 v36, 0xbf7ba420, v25, -v84
	v_mul_f32_e32 v90, 0x3f7ee86f, v26
	v_fmamk_f32 v37, v42, 0x3dbcf732, v71
	v_mul_f32_e32 v93, 0xbeb8f4ab, v48
	v_mul_f32_e32 v99, 0xbe3c28d5, v53
	v_add_f32_e32 v10, v67, v10
	v_add_f32_e32 v13, v36, v13
	v_fma_f32 v36, 0x3dbcf732, v24, -v90
	v_add_f32_e32 v12, v37, v12
	v_mul_f32_e32 v98, 0xbeb8f4ab, v21
	v_fmamk_f32 v37, v41, 0x3f6eb680, v93
	v_mul_f32_e32 v100, 0xbf4c4adb, v62
	v_fmamk_f32 v67, v46, 0xbf7ba420, v99
	v_mul_f32_e32 v101, 0x3f763a35, v52
	v_add_f32_e32 v13, v36, v13
	v_fma_f32 v36, 0x3f6eb680, v20, -v98
	v_add_f32_e32 v12, v37, v12
	v_fmamk_f32 v37, v14, 0xbf1a4643, v100
	v_add_f32_e32 v67, v67, v85
	v_fmamk_f32 v68, v45, 0xbe8c1d8e, v101
	v_mul_f32_e32 v85, 0x3eb8f4ab, v51
	v_add_f32_e32 v36, v36, v13
	v_add_f32_e32 v13, v37, v12
	v_mul_f32_e32 v103, 0xbe3c28d5, v54
	v_add_f32_e32 v12, v68, v67
	v_fmamk_f32 v37, v44, 0x3f6eb680, v85
	v_mul_f32_e32 v104, 0xbf65296c, v50
	v_mul_f32_e32 v102, 0xbf4c4adb, v61
	v_fma_f32 v68, 0xbf7ba420, v47, -v103
	v_mul_f32_e32 v105, 0x3f763a35, v31
	v_add_f32_e32 v12, v37, v12
	v_fmamk_f32 v37, v43, 0x3ee437d1, v104
	v_mul_f32_e32 v106, 0xbf06c442, v49
	v_fma_f32 v67, 0xbf1a4643, v15, -v102
	v_add_f32_e32 v68, v68, v86
	v_fma_f32 v86, 0xbe8c1d8e, v29, -v105
	v_mul_f32_e32 v107, 0x3eb8f4ab, v30
	v_add_f32_e32 v37, v37, v12
	v_fmamk_f32 v108, v42, 0xbf59a7d5, v106
	v_add_f32_e32 v12, v67, v36
	v_add_f32_e32 v36, v86, v68
	v_fma_f32 v67, 0x3f6eb680, v28, -v107
	v_mul_f32_e32 v86, 0xbf65296c, v27
	v_add_f32_e32 v37, v108, v37
	v_mul_f32_e32 v108, 0xbf4c4adb, v53
	v_mul_f32_e32 v110, 0xbf06c442, v26
	v_add_f32_e32 v36, v67, v36
	v_fma_f32 v67, 0x3ee437d1, v25, -v86
	v_mul_f32_e32 v111, 0x3e3c28d5, v52
	v_fmamk_f32 v68, v46, 0xbf1a4643, v108
	v_mul_f32_e32 v109, 0x3f4c4adb, v48
	v_mul_f32_e32 v118, 0x3e3c28d5, v31
	v_add_f32_e32 v36, v67, v36
	v_fma_f32 v67, 0xbf59a7d5, v24, -v110
	v_add_f32_e32 v68, v68, v87
	v_fmamk_f32 v87, v45, 0xbf7ba420, v111
	v_fmamk_f32 v112, v41, 0xbf1a4643, v109
	v_mul_f32_e32 v113, 0x3f763a35, v51
	v_add_f32_e32 v36, v67, v36
	v_mul_f32_e32 v120, 0x3f763a35, v30
	v_add_f32_e32 v67, v87, v68
	;; [unrolled: 2-line block ×3, first 2 shown]
	v_mul_f32_e32 v112, 0x3f4c4adb, v21
	v_fmamk_f32 v68, v44, 0xbe8c1d8e, v113
	v_mul_f32_e32 v114, 0x3f2c7751, v50
	v_fma_f32 v117, 0xbf1a4643, v47, -v87
	v_mul_f32_e32 v116, 0x3f2c7751, v62
	v_fma_f32 v115, 0xbf1a4643, v20, -v112
	v_mul_f32_e32 v122, 0x3f2c7751, v27
	v_mul_f32_e32 v119, 0x3f2c7751, v61
	v_add_f32_e32 v88, v117, v88
	v_fma_f32 v117, 0xbf7ba420, v29, -v118
	v_add_f32_e32 v67, v68, v67
	v_fmamk_f32 v68, v43, 0x3f3d2fb0, v114
	v_mul_f32_e32 v121, 0xbeb8f4ab, v49
	v_add_f32_e32 v36, v115, v36
	v_add_f32_e32 v88, v117, v88
	v_fma_f32 v117, 0xbe8c1d8e, v28, -v120
	v_fmamk_f32 v115, v14, 0x3f3d2fb0, v116
	v_mul_f32_e32 v124, 0xbeb8f4ab, v26
	v_fma_f32 v123, 0x3f3d2fb0, v15, -v119
	v_add_f32_e32 v67, v68, v67
	v_add_f32_e32 v88, v117, v88
	v_fma_f32 v117, 0x3f3d2fb0, v25, -v122
	v_fmamk_f32 v68, v42, 0x3f6eb680, v121
	v_mul_f32_e32 v125, 0xbf7ee86f, v48
	v_add_f32_e32 v37, v115, v37
	v_fma_f32 v115, 0x3f6eb680, v24, -v124
	v_add_f32_e32 v88, v117, v88
	v_mul_f32_e32 v117, 0xbf7ee86f, v21
	v_add_f32_e32 v36, v123, v36
	v_add_f32_e32 v67, v68, v67
	v_fmamk_f32 v68, v41, 0x3dbcf732, v125
	v_mul_f32_e32 v123, 0xbf06c442, v62
	v_add_f32_e32 v88, v115, v88
	v_fma_f32 v115, 0x3dbcf732, v20, -v117
	v_mul_f32_e32 v126, 0xbf06c442, v61
	v_add_f32_e32 v67, v68, v67
	v_fmamk_f32 v68, v14, 0xbf59a7d5, v123
	v_mul_f32_e32 v127, 0xbf7ee86f, v53
	v_add_f32_e32 v88, v115, v88
	v_fma_f32 v115, 0xbf59a7d5, v15, -v126
	v_mul_f32_e32 v128, 0xbf7ee86f, v54
	;; [unrolled: 6-line block ×8, first 2 shown]
	v_add_f32_e32 v66, v129, v66
	v_fmamk_f32 v129, v46, 0x3f3d2fb0, v139
	v_mul_f32_e32 v140, 0xbf65296c, v52
	v_add_f32_e32 v52, v65, v53
	v_fmamk_f32 v53, v14, 0x3f6eb680, v88
	v_mul_f32_e32 v54, 0xbf2c7751, v54
	;; [unrolled: 3-line block ×3, first 2 shown]
	v_add_f32_e32 v51, v53, v66
	v_fma_f32 v53, 0x3f3d2fb0, v47, -v54
	v_mul_f32_e32 v66, 0xbf65296c, v31
	v_add_f32_e32 v31, v65, v64
	v_fmamk_f32 v64, v44, 0x3dbcf732, v129
	v_mul_f32_e32 v65, 0xbf763a35, v50
	v_add_f32_e32 v50, v53, v63
	v_fma_f32 v53, 0x3ee437d1, v29, -v66
	v_mul_f32_e32 v63, 0xbf7ee86f, v30
	v_add_f32_e32 v30, v64, v31
	v_fmamk_f32 v31, v43, 0xbe8c1d8e, v65
	v_mul_f32_e32 v64, 0xbf4c4adb, v49
	v_add_f32_e32 v49, v53, v50
	v_fma_f32 v50, 0x3dbcf732, v28, -v63
	v_mul_f32_e32 v141, 0xbf763a35, v27
	v_mul_f32_e32 v142, 0x3eb8f4ab, v61
	v_add_f32_e32 v27, v31, v30
	v_fmamk_f32 v30, v42, 0xbf1a4643, v64
	v_add_f32_e32 v31, v50, v49
	v_fma_f32 v49, 0xbe8c1d8e, v25, -v141
	v_mul_f32_e32 v143, 0xbf4c4adb, v26
	v_fma_f32 v26, 0x3f6eb680, v15, -v142
	v_mul_f32_e32 v144, 0xbf06c442, v48
	v_add_f32_e32 v27, v30, v27
	v_add_f32_e32 v30, v49, v31
	v_fma_f32 v31, 0xbf1a4643, v24, -v143
	v_mul_f32_e32 v145, 0xbf06c442, v21
	v_fmamk_f32 v21, v41, 0xbf59a7d5, v144
	v_add_f32_e32 v50, v26, v52
	v_fma_f32 v26, 0x3ee437d1, v46, -v73
	v_add_f32_e32 v30, v31, v30
	v_fma_f32 v31, 0xbf59a7d5, v20, -v145
	v_mul_f32_e32 v62, 0xbe3c28d5, v62
	v_add_f32_e32 v21, v21, v27
	v_add_f32_e32 v26, v26, v60
	v_fma_f32 v27, 0x3dbcf732, v45, -v77
	v_add_f32_e32 v30, v31, v30
	v_fmac_f32_e32 v89, 0x3ee437d1, v47
	v_mul_f32_e32 v60, 0xbe3c28d5, v61
	v_fmamk_f32 v31, v14, 0xbf7ba420, v62
	v_add_f32_e32 v26, v27, v26
	v_fma_f32 v48, 0xbf1a4643, v44, -v79
	v_add_f32_e32 v49, v89, v59
	v_fmac_f32_e32 v91, 0x3dbcf732, v29
	v_add_f32_e32 v27, v31, v21
	v_fma_f32 v21, 0xbf7ba420, v15, -v60
	v_add_f32_e32 v31, v48, v26
	v_fma_f32 v48, 0x3f6eb680, v43, -v78
	v_add_f32_e32 v49, v91, v49
	v_fmac_f32_e32 v94, 0xbf1a4643, v28
	v_add_f32_e32 v26, v21, v30
	v_fma_f32 v21, 0xbf59a7d5, v46, -v72
	;; [unrolled: 6-line block ×4, first 2 shown]
	v_add_f32_e32 v30, v31, v30
	v_fmac_f32_e32 v69, 0xbf59a7d5, v47
	v_add_f32_e32 v31, v95, v48
	v_fmac_f32_e32 v76, 0x3f3d2fb0, v20
	v_add_f32_e32 v21, v49, v21
	v_fma_f32 v48, 0xbf7ba420, v43, -v82
	v_add_f32_e32 v49, v69, v57
	v_fmac_f32_e32 v81, 0x3f3d2fb0, v29
	v_add_f32_e32 v52, v76, v31
	v_fma_f32 v31, 0xbe8c1d8e, v14, -v80
	v_add_f32_e32 v21, v48, v21
	v_fma_f32 v48, 0x3dbcf732, v42, -v71
	v_fmac_f32_e32 v74, 0xbe8c1d8e, v15
	v_add_f32_e32 v49, v81, v49
	v_add_f32_e32 v31, v31, v30
	v_fmac_f32_e32 v83, 0x3ee437d1, v28
	v_add_f32_e32 v21, v48, v21
	v_fma_f32 v48, 0x3f6eb680, v41, -v93
	v_add_f32_e32 v30, v74, v52
	v_fma_f32 v52, 0xbf7ba420, v46, -v99
	v_add_f32_e32 v49, v83, v49
	v_fmac_f32_e32 v84, 0xbf7ba420, v25
	v_add_f32_e32 v21, v48, v21
	v_fmac_f32_e32 v103, 0xbf7ba420, v47
	v_add_f32_e32 v48, v52, v56
	v_fma_f32 v52, 0xbe8c1d8e, v45, -v101
	v_add_f32_e32 v49, v84, v49
	v_fmac_f32_e32 v90, 0x3dbcf732, v24
	v_add_f32_e32 v53, v103, v55
	v_fmac_f32_e32 v105, 0xbe8c1d8e, v29
	;; [unrolled: 6-line block ×3, first 2 shown]
	v_add_f32_e32 v48, v52, v48
	v_fma_f32 v52, 0x3ee437d1, v43, -v104
	v_add_f32_e32 v55, v98, v49
	v_fma_f32 v49, 0xbf1a4643, v14, -v100
	v_add_f32_e32 v53, v107, v53
	v_fmac_f32_e32 v86, 0x3ee437d1, v25
	v_add_f32_e32 v48, v52, v48
	v_fma_f32 v52, 0xbf59a7d5, v42, -v106
	v_fmac_f32_e32 v102, 0xbf1a4643, v15
	v_add_f32_e32 v49, v49, v21
	v_add_f32_e32 v21, v86, v53
	v_fma_f32 v53, 0xbf1a4643, v41, -v109
	v_add_f32_e32 v52, v52, v48
	v_add_f32_e32 v48, v102, v55
	v_fma_f32 v55, 0xbf1a4643, v46, -v108
	v_fmac_f32_e32 v87, 0xbf1a4643, v47
	v_fmac_f32_e32 v128, 0x3dbcf732, v47
	v_add_f32_e32 v52, v53, v52
	v_fma_f32 v53, 0xbf7ba420, v45, -v111
	v_add_f32_e32 v23, v55, v23
	v_fma_f32 v55, 0x3f3d2fb0, v14, -v116
	v_add_f32_e32 v56, v87, v22
	v_fmac_f32_e32 v54, 0x3f3d2fb0, v47
	v_fmac_f32_e32 v118, 0xbf7ba420, v29
	v_add_f32_e32 v23, v53, v23
	v_fma_f32 v53, 0xbe8c1d8e, v44, -v113
	v_add_f32_e32 v22, v55, v52
	v_fma_f32 v55, 0x3dbcf732, v46, -v127
	v_fma_f32 v46, 0x3f3d2fb0, v46, -v139
	v_add_f32_e32 v18, v128, v18
	v_add_f32_e32 v23, v53, v23
	v_fma_f32 v53, 0x3f3d2fb0, v43, -v114
	v_add_f32_e32 v19, v55, v19
	v_fma_f32 v55, 0xbf1a4643, v45, -v130
	v_fmac_f32_e32 v115, 0xbf1a4643, v29
	v_add_f32_e32 v17, v46, v17
	v_add_f32_e32 v23, v53, v23
	v_fma_f32 v53, 0x3f6eb680, v42, -v121
	v_add_f32_e32 v19, v55, v19
	v_fma_f32 v55, 0xbf7ba420, v44, -v131
	v_fma_f32 v45, 0x3ee437d1, v45, -v140
	v_add_f32_e32 v16, v54, v16
	v_add_f32_e32 v23, v53, v23
	v_fma_f32 v53, 0x3dbcf732, v41, -v125
	v_add_f32_e32 v19, v55, v19
	v_fma_f32 v55, 0xbf59a7d5, v43, -v133
	v_fmac_f32_e32 v66, 0x3ee437d1, v29
	v_add_f32_e32 v52, v118, v56
	v_add_f32_e32 v23, v53, v23
	v_fma_f32 v53, 0xbf59a7d5, v14, -v123
	v_add_f32_e32 v19, v55, v19
	v_fmac_f32_e32 v120, 0xbe8c1d8e, v28
	v_add_f32_e32 v18, v115, v18
	v_fmac_f32_e32 v132, 0xbf7ba420, v28
	v_add_f32_e32 v53, v53, v23
	v_fma_f32 v23, 0xbe8c1d8e, v42, -v135
	v_add_f32_e32 v17, v45, v17
	v_add_f32_e32 v16, v66, v16
	v_fmac_f32_e32 v63, 0x3dbcf732, v28
	v_add_f32_e32 v52, v120, v52
	v_add_f32_e32 v19, v23, v19
	v_fma_f32 v23, 0x3ee437d1, v41, -v137
	v_fmac_f32_e32 v122, 0x3f3d2fb0, v25
	v_add_f32_e32 v18, v132, v18
	v_fmac_f32_e32 v134, 0xbf59a7d5, v25
	v_add_f32_e32 v16, v63, v16
	v_add_f32_e32 v19, v23, v19
	v_fma_f32 v23, 0x3dbcf732, v44, -v129
	v_fmac_f32_e32 v141, 0xbe8c1d8e, v25
	v_fmac_f32_e32 v110, 0xbf59a7d5, v24
	v_add_f32_e32 v52, v122, v52
	v_fmac_f32_e32 v124, 0x3f6eb680, v24
	v_add_f32_e32 v17, v23, v17
	v_fma_f32 v23, 0xbe8c1d8e, v43, -v65
	v_add_f32_e32 v18, v134, v18
	v_fmac_f32_e32 v136, 0xbe8c1d8e, v24
	v_add_f32_e32 v16, v141, v16
	v_fmac_f32_e32 v143, 0xbf1a4643, v24
	v_add_f32_e32 v17, v23, v17
	v_fma_f32 v23, 0xbf1a4643, v42, -v64
	v_add_f32_e32 v21, v110, v21
	v_fmac_f32_e32 v112, 0xbf1a4643, v20
	v_add_f32_e32 v52, v124, v52
	v_fmac_f32_e32 v117, 0x3dbcf732, v20
	;; [unrolled: 2-line block ×3, first 2 shown]
	v_add_f32_e32 v17, v23, v17
	v_fma_f32 v23, 0xbf59a7d5, v41, -v144
	v_add_f32_e32 v16, v143, v16
	v_fmac_f32_e32 v145, 0xbf59a7d5, v20
	v_add_f32_e32 v21, v112, v21
	v_fmac_f32_e32 v119, 0x3f3d2fb0, v15
	;; [unrolled: 2-line block ×3, first 2 shown]
	v_fma_f32 v28, 0x3f6eb680, v14, -v88
	v_add_f32_e32 v18, v138, v18
	v_fmac_f32_e32 v142, 0x3f6eb680, v15
	v_add_f32_e32 v17, v23, v17
	v_fma_f32 v20, 0xbf7ba420, v14, -v62
	v_add_f32_e32 v16, v145, v16
	v_fmac_f32_e32 v60, 0xbf7ba420, v15
	v_lshl_add_u32 v23, v32, 7, v38
	v_add_f32_e32 v21, v119, v21
	v_add_f32_e32 v52, v126, v52
	;; [unrolled: 1-line block ×6, first 2 shown]
	ds_write2_b64 v23, v[0:1], v[26:27] offset1:1
	ds_write2_b64 v23, v[50:51], v[67:68] offset0:2 offset1:3
	ds_write2_b64 v23, v[36:37], v[12:13] offset0:4 offset1:5
	;; [unrolled: 1-line block ×7, first 2 shown]
	ds_write_b64 v23, v[16:17] offset:128
.LBB0_19:
	s_or_b32 exec_lo, exec_lo, s1
	v_and_b32_e32 v0, 0xff, v32
	v_add_nc_u16 v31, v32, 0x77
	v_mov_b32_e32 v6, 0xf0f1
	v_add_nc_u32_e32 v3, 0x1dc, v32
	v_add_nc_u32_e32 v5, 0x2ca, v32
	v_mul_lo_u16 v17, 0xf1, v0
	v_add_nc_u32_e32 v0, 0x253, v32
	v_and_b32_e32 v4, 0xff, v31
	v_add_nc_u32_e32 v1, 0xee, v32
	v_add_nc_u32_e32 v2, 0x165, v32
	v_lshrrev_b16 v55, 12, v17
	v_mul_u32_u24_sdwa v10, v0, v6 dst_sel:DWORD dst_unused:UNUSED_PAD src0_sel:WORD_0 src1_sel:DWORD
	v_mul_u32_u24_sdwa v9, v3, v6 dst_sel:DWORD dst_unused:UNUSED_PAD src0_sel:WORD_0 src1_sel:DWORD
	;; [unrolled: 1-line block ×3, first 2 shown]
	v_mul_lo_u16 v56, 0xf1, v4
	v_mul_lo_u16 v7, v55, 17
	v_mul_u32_u24_sdwa v8, v1, v6 dst_sel:DWORD dst_unused:UNUSED_PAD src0_sel:WORD_0 src1_sel:DWORD
	v_lshrrev_b32_e32 v60, 20, v10
	v_mov_b32_e32 v4, 3
	v_lshrrev_b32_e32 v58, 20, v9
	v_sub_nc_u16 v7, v32, v7
	v_mul_u32_u24_sdwa v6, v2, v6 dst_sel:DWORD dst_unused:UNUSED_PAD src0_sel:WORD_0 src1_sel:DWORD
	v_lshrrev_b32_e32 v61, 20, v11
	v_lshrrev_b16 v57, 12, v56
	v_mul_lo_u16 v10, v60, 17
	v_lshrrev_b32_e32 v62, 20, v8
	v_lshlrev_b32_sdwa v59, v4, v7 dst_sel:DWORD dst_unused:UNUSED_PAD src0_sel:DWORD src1_sel:BYTE_0
	v_mul_lo_u16 v7, v58, 17
	v_lshrrev_b32_e32 v63, 20, v6
	v_mul_lo_u16 v8, v61, 17
	v_mul_lo_u16 v9, v57, 17
	v_sub_nc_u16 v0, v0, v10
	v_mul_lo_u16 v6, v62, 17
	v_sub_nc_u16 v3, v3, v7
	;; [unrolled: 2-line block ×3, first 2 shown]
	v_sub_nc_u16 v9, v31, v9
	v_lshlrev_b32_sdwa v64, v4, v0 dst_sel:DWORD dst_unused:UNUSED_PAD src0_sel:DWORD src1_sel:WORD_0
	v_sub_nc_u16 v0, v1, v6
	v_sub_nc_u16 v1, v2, v7
	s_waitcnt lgkmcnt(0)
	s_barrier
	buffer_gl0_inv
	s_clause 0x1
	global_load_dwordx2 v[29:30], v59, s[8:9]
	global_load_dwordx2 v[41:42], v64, s[8:9]
	v_lshlrev_b32_sdwa v65, v4, v5 dst_sel:DWORD dst_unused:UNUSED_PAD src0_sel:DWORD src1_sel:WORD_0
	v_lshlrev_b32_sdwa v3, v4, v3 dst_sel:DWORD dst_unused:UNUSED_PAD src0_sel:DWORD src1_sel:WORD_0
	v_lshlrev_b32_sdwa v66, v4, v9 dst_sel:DWORD dst_unused:UNUSED_PAD src0_sel:DWORD src1_sel:BYTE_0
	v_lshlrev_b32_sdwa v67, v4, v0 dst_sel:DWORD dst_unused:UNUSED_PAD src0_sel:DWORD src1_sel:WORD_0
	v_lshlrev_b32_sdwa v68, v4, v1 dst_sel:DWORD dst_unused:UNUSED_PAD src0_sel:DWORD src1_sel:WORD_0
	s_clause 0x4
	global_load_dwordx2 v[43:44], v65, s[8:9]
	global_load_dwordx2 v[36:37], v3, s[8:9]
	;; [unrolled: 1-line block ×5, first 2 shown]
	v_add_nc_u32_e32 v1, 0x1400, v38
	v_add_nc_u32_e32 v2, 0xc00, v38
	;; [unrolled: 1-line block ×3, first 2 shown]
	ds_read2_b64 v[5:8], v38 offset1:119
	ds_read2_b64 v[9:12], v39 offset0:56 offset1:175
	ds_read2_b64 v[13:16], v33 offset0:110 offset1:229
	ds_read_b64 v[51:52], v38 offset:9520
	ds_read2_b32 v[53:54], v40 offset0:58 offset1:59
	v_lshrrev_b16 v70, 13, v17
	ds_read2_b64 v[17:20], v1 offset0:74 offset1:193
	ds_read2_b64 v[21:24], v2 offset0:92 offset1:211
	;; [unrolled: 1-line block ×3, first 2 shown]
	v_mul_u32_u24_e32 v58, 0x110, v58
	v_mul_u32_u24_e32 v60, 0x110, v60
	;; [unrolled: 1-line block ×3, first 2 shown]
	v_mov_b32_e32 v40, 0x110
	v_mul_u32_u24_e32 v62, 0x110, v62
	v_add3_u32 v3, 0, v58, v3
	v_add3_u32 v58, 0, v60, v64
	;; [unrolled: 1-line block ×3, first 2 shown]
	v_mul_u32_u24_sdwa v55, v55, v40 dst_sel:DWORD dst_unused:UNUSED_PAD src0_sel:WORD_0 src1_sel:DWORD
	v_mul_u32_u24_e32 v63, 0x110, v63
	v_lshrrev_b16 v56, 13, v56
	v_mul_lo_u16 v71, v70, 34
	v_mov_b32_e32 v69, 6
	v_add3_u32 v55, 0, v55, v59
	v_add3_u32 v59, 0, v62, v67
	;; [unrolled: 1-line block ×3, first 2 shown]
	v_mul_lo_u16 v72, v56, 34
	v_sub_nc_u16 v71, v32, v71
	v_mul_u32_u24_sdwa v40, v57, v40 dst_sel:DWORD dst_unused:UNUSED_PAD src0_sel:WORD_0 src1_sel:DWORD
	s_waitcnt vmcnt(0) lgkmcnt(0)
	s_barrier
	v_sub_nc_u16 v31, v31, v72
	v_mul_u32_u24_sdwa v57, v71, v69 dst_sel:DWORD dst_unused:UNUSED_PAD src0_sel:BYTE_0 src1_sel:DWORD
	v_add3_u32 v40, 0, v40, v66
	buffer_gl0_inv
	v_lshlrev_b32_e32 v57, 3, v57
	v_mul_f32_e32 v61, v30, v20
	v_mul_f32_e32 v30, v30, v19
	v_mul_f32_e32 v64, v26, v42
	v_mul_f32_e32 v42, v25, v42
	v_fma_f32 v19, v29, v19, -v61
	v_fmac_f32_e32 v30, v29, v20
	v_mul_f32_e32 v65, v28, v44
	v_mul_f32_e32 v20, v46, v10
	;; [unrolled: 1-line block ×10, first 2 shown]
	v_fmac_f32_e32 v42, v26, v41
	v_fma_f32 v26, v27, v43, -v65
	v_fma_f32 v27, v45, v9, -v20
	v_fmac_f32_e32 v29, v45, v10
	v_fma_f32 v53, v36, v53, -v63
	v_fmac_f32_e32 v37, v54, v36
	;; [unrolled: 2-line block ×3, first 2 shown]
	v_fma_f32 v25, v25, v41, -v64
	v_fma_f32 v41, v49, v51, -v61
	v_fmac_f32_e32 v50, v49, v52
	v_fmac_f32_e32 v44, v28, v43
	v_sub_f32_e32 v9, v5, v19
	v_sub_f32_e32 v10, v6, v30
	;; [unrolled: 1-line block ×14, first 2 shown]
	v_fma_f32 v5, v5, 2.0, -v9
	v_fma_f32 v6, v6, 2.0, -v10
	;; [unrolled: 1-line block ×14, first 2 shown]
	ds_write2_b64 v55, v[5:6], v[9:10] offset1:17
	ds_write2_b64 v40, v[7:8], v[27:28] offset1:17
	;; [unrolled: 1-line block ×7, first 2 shown]
	v_mul_u32_u24_sdwa v3, v31, v69 dst_sel:DWORD dst_unused:UNUSED_PAD src0_sel:BYTE_0 src1_sel:DWORD
	s_waitcnt lgkmcnt(0)
	s_barrier
	buffer_gl0_inv
	s_clause 0x1
	global_load_dwordx4 v[5:8], v57, s[8:9] offset:136
	global_load_dwordx4 v[9:12], v57, s[8:9] offset:152
	v_lshlrev_b32_e32 v3, 3, v3
	s_clause 0x3
	global_load_dwordx4 v[13:16], v57, s[8:9] offset:168
	global_load_dwordx4 v[17:20], v3, s[8:9] offset:136
	;; [unrolled: 1-line block ×4, first 2 shown]
	v_mov_b32_e32 v29, 0x770
	v_add_nc_u32_e32 v3, 0x2400, v38
	ds_read2_b64 v[40:43], v33 offset0:110 offset1:229
	ds_read2_b64 v[44:47], v2 offset0:92 offset1:211
	;; [unrolled: 1-line block ×3, first 2 shown]
	v_mul_u32_u24_sdwa v36, v70, v29 dst_sel:DWORD dst_unused:UNUSED_PAD src0_sel:WORD_0 src1_sel:DWORD
	v_mul_u32_u24_sdwa v29, v56, v29 dst_sel:DWORD dst_unused:UNUSED_PAD src0_sel:WORD_0 src1_sel:DWORD
	ds_read2_b64 v[52:55], v39 offset0:56 offset1:175
	ds_read2_b64 v[56:59], v3 offset0:38 offset1:157
	;; [unrolled: 1-line block ×3, first 2 shown]
	v_mul_u32_u24_e32 v30, 6, v32
	v_lshlrev_b32_sdwa v37, v4, v71 dst_sel:DWORD dst_unused:UNUSED_PAD src0_sel:DWORD src1_sel:BYTE_0
	v_lshlrev_b32_sdwa v4, v4, v31 dst_sel:DWORD dst_unused:UNUSED_PAD src0_sel:DWORD src1_sel:BYTE_0
	ds_read2_b64 v[64:67], v38 offset1:119
	s_waitcnt vmcnt(0) lgkmcnt(0)
	v_lshlrev_b32_e32 v68, 3, v30
	v_add3_u32 v36, 0, v36, v37
	v_add3_u32 v37, 0, v29, v4
	s_barrier
	buffer_gl0_inv
	v_mul_f32_e32 v4, v6, v41
	v_mul_f32_e32 v6, v6, v40
	;; [unrolled: 1-line block ×24, first 2 shown]
	v_fma_f32 v4, v5, v40, -v4
	v_fmac_f32_e32 v6, v5, v41
	v_fma_f32 v5, v7, v44, -v29
	v_fmac_f32_e32 v8, v7, v45
	;; [unrolled: 2-line block ×12, first 2 shown]
	v_add_f32_e32 v27, v4, v13
	v_add_f32_e32 v29, v6, v16
	v_sub_f32_e32 v4, v4, v13
	v_sub_f32_e32 v6, v6, v16
	v_add_f32_e32 v13, v5, v11
	v_add_f32_e32 v16, v8, v14
	v_sub_f32_e32 v5, v5, v11
	v_sub_f32_e32 v8, v8, v14
	;; [unrolled: 4-line block ×7, first 2 shown]
	v_sub_f32_e32 v27, v27, v11
	v_sub_f32_e32 v29, v29, v14
	;; [unrolled: 1-line block ×4, first 2 shown]
	v_add_f32_e32 v40, v7, v5
	v_add_f32_e32 v41, v9, v8
	v_sub_f32_e32 v42, v7, v5
	v_sub_f32_e32 v43, v9, v8
	;; [unrolled: 1-line block ×3, first 2 shown]
	v_add_f32_e32 v5, v25, v10
	v_add_f32_e32 v45, v28, v12
	v_sub_f32_e32 v8, v8, v6
	v_sub_f32_e32 v46, v25, v10
	;; [unrolled: 1-line block ×7, first 2 shown]
	v_add_f32_e32 v48, v19, v17
	v_add_f32_e32 v49, v21, v20
	v_sub_f32_e32 v50, v19, v17
	v_sub_f32_e32 v51, v21, v20
	;; [unrolled: 1-line block ×3, first 2 shown]
	v_add_f32_e32 v11, v11, v22
	v_add_f32_e32 v14, v14, v24
	v_sub_f32_e32 v17, v17, v15
	v_sub_f32_e32 v7, v4, v7
	;; [unrolled: 1-line block ×3, first 2 shown]
	v_add_f32_e32 v22, v40, v4
	v_add_f32_e32 v24, v41, v6
	v_mul_f32_e32 v6, 0x3f4a47b2, v27
	v_mul_f32_e32 v27, 0x3f4a47b2, v29
	;; [unrolled: 1-line block ×7, first 2 shown]
	v_add_f32_e32 v23, v23, v5
	v_add_f32_e32 v26, v26, v45
	v_sub_f32_e32 v19, v15, v19
	v_sub_f32_e32 v21, v18, v21
	v_mul_f32_e32 v52, 0x3f5ff5aa, v8
	v_add_f32_e32 v15, v48, v15
	v_add_f32_e32 v18, v49, v18
	v_mul_f32_e32 v10, 0x3f4a47b2, v10
	v_mul_f32_e32 v12, 0x3f4a47b2, v12
	;; [unrolled: 1-line block ×7, first 2 shown]
	v_add_f32_e32 v4, v11, v64
	v_add_f32_e32 v5, v14, v65
	v_mul_f32_e32 v51, 0x3f5ff5aa, v17
	v_fmamk_f32 v13, v13, 0x3d64c772, v6
	v_fmamk_f32 v16, v16, 0x3d64c772, v27
	v_fma_f32 v29, 0x3f3bfb3b, v30, -v29
	v_fma_f32 v40, 0x3f3bfb3b, v31, -v40
	;; [unrolled: 1-line block ×4, first 2 shown]
	v_fmamk_f32 v31, v7, 0x3eae86e6, v41
	v_fma_f32 v43, 0xbeae86e6, v7, -v43
	v_add_f32_e32 v6, v23, v66
	v_add_f32_e32 v7, v26, v67
	v_fmamk_f32 v54, v9, 0x3eae86e6, v42
	v_fma_f32 v41, 0x3f5ff5aa, v44, -v41
	v_fma_f32 v42, 0x3f5ff5aa, v8, -v42
	;; [unrolled: 1-line block ×3, first 2 shown]
	v_fmamk_f32 v8, v25, 0x3d64c772, v10
	v_fmamk_f32 v9, v28, 0x3d64c772, v12
	v_fma_f32 v25, 0x3f3bfb3b, v46, -v45
	v_fma_f32 v28, 0x3f3bfb3b, v47, -v48
	;; [unrolled: 1-line block ×3, first 2 shown]
	v_fmamk_f32 v46, v21, 0x3eae86e6, v50
	v_fma_f32 v48, 0x3f5ff5aa, v20, -v50
	v_fma_f32 v50, 0xbeae86e6, v21, -v53
	v_fmamk_f32 v11, v11, 0xbf955555, v4
	v_fmamk_f32 v14, v14, 0xbf955555, v5
	v_fma_f32 v12, 0xbf3bfb3b, v47, -v12
	v_fmamk_f32 v45, v19, 0x3eae86e6, v49
	v_fma_f32 v47, 0x3f5ff5aa, v17, -v49
	v_fma_f32 v49, 0xbeae86e6, v19, -v51
	v_fmamk_f32 v17, v23, 0xbf955555, v6
	v_fmamk_f32 v19, v26, 0xbf955555, v7
	v_fmac_f32_e32 v31, 0x3ee1c552, v22
	v_fmac_f32_e32 v54, 0x3ee1c552, v24
	;; [unrolled: 1-line block ×5, first 2 shown]
	v_add_f32_e32 v18, v13, v11
	v_add_f32_e32 v20, v16, v14
	v_fmac_f32_e32 v41, 0x3ee1c552, v22
	v_fmac_f32_e32 v42, 0x3ee1c552, v24
	;; [unrolled: 1-line block ×7, first 2 shown]
	v_add_f32_e32 v15, v29, v11
	v_add_f32_e32 v16, v40, v14
	;; [unrolled: 1-line block ×11, first 2 shown]
	v_sub_f32_e32 v9, v20, v31
	v_add_f32_e32 v10, v44, v21
	v_sub_f32_e32 v11, v22, v43
	v_sub_f32_e32 v12, v15, v42
	v_add_f32_e32 v13, v41, v16
	v_add_f32_e32 v14, v42, v15
	v_sub_f32_e32 v15, v16, v41
	v_sub_f32_e32 v16, v21, v44
	v_add_f32_e32 v17, v43, v22
	v_sub_f32_e32 v18, v18, v54
	v_add_f32_e32 v19, v31, v20
	v_add_f32_e32 v20, v46, v30
	v_sub_f32_e32 v21, v40, v45
	v_add_f32_e32 v22, v50, v28
	v_sub_f32_e32 v23, v29, v49
	v_sub_f32_e32 v24, v26, v48
	v_add_f32_e32 v25, v47, v27
	v_add_f32_e32 v26, v48, v26
	v_sub_f32_e32 v27, v27, v47
	v_sub_f32_e32 v28, v28, v50
	v_add_f32_e32 v29, v49, v29
	v_sub_f32_e32 v30, v30, v46
	v_add_f32_e32 v31, v45, v40
	ds_write2_b64 v36, v[4:5], v[8:9] offset1:34
	ds_write2_b64 v36, v[10:11], v[12:13] offset0:68 offset1:102
	ds_write2_b64 v36, v[14:15], v[16:17] offset0:136 offset1:170
	ds_write_b64 v36, v[18:19] offset:1632
	ds_write2_b64 v37, v[6:7], v[20:21] offset1:34
	ds_write2_b64 v37, v[22:23], v[24:25] offset0:68 offset1:102
	ds_write2_b64 v37, v[26:27], v[28:29] offset0:136 offset1:170
	ds_write_b64 v37, v[30:31] offset:1632
	v_add_co_u32 v18, s0, s8, v68
	v_add_co_ci_u32_e64 v19, null, s9, 0, s0
	s_waitcnt lgkmcnt(0)
	v_add_co_u32 v16, s0, 0x1800, v18
	v_add_co_ci_u32_e64 v17, s0, 0, v19, s0
	v_add_co_u32 v24, s0, 0x1d38, v18
	v_add_co_ci_u32_e64 v25, s0, 0, v19, s0
	s_barrier
	buffer_gl0_inv
	s_clause 0x5
	global_load_dwordx4 v[4:7], v68, s[8:9] offset:1768
	global_load_dwordx4 v[8:11], v68, s[8:9] offset:1784
	;; [unrolled: 1-line block ×3, first 2 shown]
	global_load_dwordx4 v[16:19], v[16:17], off offset:1336
	global_load_dwordx4 v[20:23], v[24:25], off offset:16
	;; [unrolled: 1-line block ×3, first 2 shown]
	ds_read2_b64 v[28:31], v33 offset0:110 offset1:229
	ds_read2_b64 v[40:43], v2 offset0:92 offset1:211
	;; [unrolled: 1-line block ×6, first 2 shown]
	ds_read2_b64 v[60:63], v38 offset1:119
	s_waitcnt vmcnt(0) lgkmcnt(0)
	s_barrier
	buffer_gl0_inv
	v_mul_f32_e32 v36, v5, v29
	v_mul_f32_e32 v5, v5, v28
	;; [unrolled: 1-line block ×24, first 2 shown]
	v_fma_f32 v28, v4, v28, -v36
	v_fmac_f32_e32 v5, v4, v29
	v_fma_f32 v4, v6, v40, -v37
	v_fmac_f32_e32 v7, v6, v41
	;; [unrolled: 2-line block ×12, first 2 shown]
	v_add_f32_e32 v26, v28, v12
	v_add_f32_e32 v29, v5, v15
	v_sub_f32_e32 v12, v28, v12
	v_sub_f32_e32 v5, v5, v15
	v_add_f32_e32 v15, v4, v10
	v_add_f32_e32 v28, v7, v13
	v_sub_f32_e32 v4, v4, v10
	v_sub_f32_e32 v7, v7, v13
	;; [unrolled: 4-line block ×7, first 2 shown]
	v_sub_f32_e32 v26, v26, v10
	v_sub_f32_e32 v29, v29, v13
	;; [unrolled: 1-line block ×4, first 2 shown]
	v_add_f32_e32 v36, v6, v4
	v_add_f32_e32 v37, v8, v7
	v_sub_f32_e32 v40, v6, v4
	v_sub_f32_e32 v41, v8, v7
	;; [unrolled: 1-line block ×3, first 2 shown]
	v_add_f32_e32 v4, v24, v9
	v_add_f32_e32 v43, v27, v11
	v_sub_f32_e32 v6, v12, v6
	v_sub_f32_e32 v8, v5, v8
	;; [unrolled: 1-line block ×9, first 2 shown]
	v_add_f32_e32 v46, v18, v16
	v_add_f32_e32 v47, v20, v19
	v_sub_f32_e32 v48, v18, v16
	v_sub_f32_e32 v49, v20, v19
	v_sub_f32_e32 v16, v16, v14
	v_sub_f32_e32 v19, v19, v17
	v_add_f32_e32 v10, v10, v21
	v_add_f32_e32 v13, v13, v23
	v_add_f32_e32 v12, v36, v12
	v_add_f32_e32 v21, v37, v5
	v_mul_f32_e32 v23, 0x3f4a47b2, v26
	v_mul_f32_e32 v26, 0x3f4a47b2, v29
	;; [unrolled: 1-line block ×7, first 2 shown]
	v_add_f32_e32 v22, v22, v4
	v_add_f32_e32 v25, v25, v43
	v_sub_f32_e32 v18, v14, v18
	v_sub_f32_e32 v20, v17, v20
	v_mul_f32_e32 v50, 0x3f5ff5aa, v7
	v_add_f32_e32 v14, v46, v14
	v_add_f32_e32 v17, v47, v17
	v_mul_f32_e32 v9, 0x3f4a47b2, v9
	v_mul_f32_e32 v11, 0x3f4a47b2, v11
	;; [unrolled: 1-line block ×8, first 2 shown]
	v_add_f32_e32 v4, v10, v60
	v_add_f32_e32 v5, v13, v61
	v_fmamk_f32 v15, v15, 0x3d64c772, v23
	v_fmamk_f32 v28, v28, 0x3d64c772, v26
	v_fma_f32 v29, 0x3f3bfb3b, v30, -v29
	v_fma_f32 v36, 0x3f3bfb3b, v31, -v36
	v_fma_f32 v23, 0xbf3bfb3b, v30, -v23
	v_fma_f32 v26, 0xbf3bfb3b, v31, -v26
	v_fmamk_f32 v30, v6, 0x3eae86e6, v37
	v_fmamk_f32 v31, v8, 0x3eae86e6, v40
	v_fma_f32 v37, 0x3f5ff5aa, v42, -v37
	v_fma_f32 v40, 0x3f5ff5aa, v7, -v40
	;; [unrolled: 1-line block ×3, first 2 shown]
	v_add_f32_e32 v6, v22, v62
	v_add_f32_e32 v7, v25, v63
	v_fma_f32 v42, 0xbeae86e6, v8, -v50
	v_fmamk_f32 v8, v24, 0x3d64c772, v9
	v_fmamk_f32 v24, v27, 0x3d64c772, v11
	v_fma_f32 v27, 0x3f3bfb3b, v44, -v43
	v_fma_f32 v43, 0x3f3bfb3b, v45, -v46
	;; [unrolled: 1-line block ×4, first 2 shown]
	v_fmamk_f32 v44, v18, 0x3eae86e6, v47
	v_fmamk_f32 v45, v20, 0x3eae86e6, v48
	v_fma_f32 v46, 0x3f5ff5aa, v16, -v47
	v_fma_f32 v47, 0x3f5ff5aa, v19, -v48
	;; [unrolled: 1-line block ×4, first 2 shown]
	v_fmamk_f32 v10, v10, 0xbf955555, v4
	v_fmamk_f32 v13, v13, 0xbf955555, v5
	v_fmac_f32_e32 v30, 0x3ee1c552, v12
	v_fmac_f32_e32 v37, 0x3ee1c552, v12
	;; [unrolled: 1-line block ×3, first 2 shown]
	v_fmamk_f32 v12, v22, 0xbf955555, v6
	v_fmamk_f32 v16, v25, 0xbf955555, v7
	v_fmac_f32_e32 v31, 0x3ee1c552, v21
	v_fmac_f32_e32 v40, 0x3ee1c552, v21
	;; [unrolled: 1-line block ×8, first 2 shown]
	v_add_f32_e32 v14, v15, v10
	v_add_f32_e32 v15, v28, v13
	;; [unrolled: 1-line block ×7, first 2 shown]
	v_fmac_f32_e32 v42, 0x3ee1c552, v21
	v_add_f32_e32 v19, v23, v10
	v_add_f32_e32 v24, v9, v12
	v_add_f32_e32 v25, v11, v16
	v_add_f32_e32 v22, v27, v12
	v_add_f32_e32 v23, v43, v16
	ds_write2_b64 v38, v[4:5], v[6:7] offset1:119
	v_add_f32_e32 v4, v31, v14
	v_sub_f32_e32 v5, v15, v30
	v_sub_f32_e32 v8, v17, v40
	v_add_f32_e32 v10, v40, v17
	v_add_f32_e32 v16, v45, v26
	v_sub_f32_e32 v17, v28, v44
	v_add_f32_e32 v6, v42, v19
	v_sub_f32_e32 v7, v13, v41
	;; [unrolled: 2-line block ×3, first 2 shown]
	v_sub_f32_e32 v12, v19, v42
	v_add_f32_e32 v18, v49, v24
	v_sub_f32_e32 v19, v25, v48
	v_sub_f32_e32 v20, v22, v47
	v_add_f32_e32 v21, v46, v23
	v_add_f32_e32 v22, v47, v22
	v_sub_f32_e32 v23, v23, v46
	v_add_f32_e32 v13, v41, v13
	v_sub_f32_e32 v24, v24, v49
	;; [unrolled: 2-line block ×4, first 2 shown]
	v_add_f32_e32 v27, v44, v28
	ds_write2_b64 v33, v[4:5], v[16:17] offset0:110 offset1:229
	ds_write2_b64 v2, v[6:7], v[18:19] offset0:92 offset1:211
	;; [unrolled: 1-line block ×6, first 2 shown]
	s_waitcnt lgkmcnt(0)
	s_barrier
	buffer_gl0_inv
	s_and_saveexec_b32 s0, vcc_lo
	s_cbranch_execz .LBB0_21
; %bb.20:
	v_lshl_add_u32 v20, v32, 3, 0
	v_mov_b32_e32 v33, 0
	v_add_nc_u32_e32 v4, 0x77, v32
	v_add_co_u32 v21, vcc_lo, s2, v34
	ds_read2_b64 v[0:3], v20 offset1:119
	v_lshlrev_b64 v[6:7], 3, v[32:33]
	v_mov_b32_e32 v5, v33
	v_add_co_ci_u32_e32 v22, vcc_lo, s3, v35, vcc_lo
	v_add_nc_u32_e32 v14, 0x400, v20
	v_add_nc_u32_e32 v8, 0xee, v32
	v_lshlrev_b64 v[4:5], 3, v[4:5]
	v_add_co_u32 v6, vcc_lo, v21, v6
	v_add_co_ci_u32_e32 v7, vcc_lo, v22, v7, vcc_lo
	v_add_nc_u32_e32 v10, 0x165, v32
	v_mov_b32_e32 v9, v33
	v_mov_b32_e32 v11, v33
	v_add_nc_u32_e32 v17, 0xc00, v20
	v_add_co_u32 v12, vcc_lo, v21, v4
	v_add_co_ci_u32_e32 v13, vcc_lo, v22, v5, vcc_lo
	s_waitcnt lgkmcnt(0)
	global_store_dwordx2 v[6:7], v[0:1], off
	ds_read2_b64 v[4:7], v14 offset0:110 offset1:229
	v_lshlrev_b64 v[0:1], 3, v[8:9]
	v_lshlrev_b64 v[14:15], 3, v[10:11]
	ds_read2_b64 v[8:11], v17 offset0:92 offset1:211
	v_add_nc_u32_e32 v16, 0x1dc, v32
	v_mov_b32_e32 v17, v33
	v_add_nc_u32_e32 v18, 0x253, v32
	v_add_co_u32 v0, vcc_lo, v21, v0
	v_add_co_ci_u32_e32 v1, vcc_lo, v22, v1, vcc_lo
	v_lshlrev_b64 v[16:17], 3, v[16:17]
	v_add_co_u32 v14, vcc_lo, v21, v14
	v_add_co_ci_u32_e32 v15, vcc_lo, v22, v15, vcc_lo
	v_mov_b32_e32 v19, v33
	v_add_co_u32 v16, vcc_lo, v21, v16
	v_add_co_ci_u32_e32 v17, vcc_lo, v22, v17, vcc_lo
	global_store_dwordx2 v[12:13], v[2:3], off
	s_waitcnt lgkmcnt(1)
	global_store_dwordx2 v[0:1], v[4:5], off
	global_store_dwordx2 v[14:15], v[6:7], off
	s_waitcnt lgkmcnt(0)
	global_store_dwordx2 v[16:17], v[8:9], off
	v_lshlrev_b64 v[0:1], 3, v[18:19]
	v_add_nc_u32_e32 v2, 0x1400, v20
	v_add_nc_u32_e32 v4, 0x2ca, v32
	v_mov_b32_e32 v5, v33
	v_add_nc_u32_e32 v6, 0x341, v32
	v_mov_b32_e32 v7, v33
	v_add_nc_u32_e32 v17, 0x1c00, v20
	v_add_co_u32 v8, vcc_lo, v21, v0
	v_add_co_ci_u32_e32 v9, vcc_lo, v22, v1, vcc_lo
	ds_read2_b64 v[0:3], v2 offset0:74 offset1:193
	v_lshlrev_b64 v[12:13], 3, v[4:5]
	v_lshlrev_b64 v[14:15], 3, v[6:7]
	ds_read2_b64 v[4:7], v17 offset0:56 offset1:175
	v_add_nc_u32_e32 v16, 0x3b8, v32
	v_mov_b32_e32 v17, v33
	v_add_nc_u32_e32 v18, 0x42f, v32
	v_add_co_u32 v12, vcc_lo, v21, v12
	v_add_co_ci_u32_e32 v13, vcc_lo, v22, v13, vcc_lo
	v_lshlrev_b64 v[16:17], 3, v[16:17]
	v_add_co_u32 v14, vcc_lo, v21, v14
	v_add_co_ci_u32_e32 v15, vcc_lo, v22, v15, vcc_lo
	v_add_co_u32 v16, vcc_lo, v21, v16
	v_add_co_ci_u32_e32 v17, vcc_lo, v22, v17, vcc_lo
	global_store_dwordx2 v[8:9], v[10:11], off
	s_waitcnt lgkmcnt(1)
	global_store_dwordx2 v[12:13], v[0:1], off
	global_store_dwordx2 v[14:15], v[2:3], off
	s_waitcnt lgkmcnt(0)
	global_store_dwordx2 v[16:17], v[4:5], off
	v_lshlrev_b64 v[0:1], 3, v[18:19]
	v_add_nc_u32_e32 v2, 0x2400, v20
	v_add_nc_u32_e32 v4, 0x4a6, v32
	v_mov_b32_e32 v5, v33
	v_add_nc_u32_e32 v8, 0x51d, v32
	v_mov_b32_e32 v9, v33
	v_add_nc_u32_e32 v10, 0x2c00, v20
	v_add_co_u32 v12, vcc_lo, v21, v0
	v_add_co_ci_u32_e32 v13, vcc_lo, v22, v1, vcc_lo
	ds_read2_b64 v[0:3], v2 offset0:38 offset1:157
	v_lshlrev_b64 v[4:5], 3, v[4:5]
	v_lshlrev_b64 v[14:15], 3, v[8:9]
	v_add_nc_u32_e32 v16, 0x594, v32
	v_mov_b32_e32 v17, v33
	ds_read2_b64 v[8:11], v10 offset0:20 offset1:139
	v_add_nc_u32_e32 v32, 0x60b, v32
	v_add_co_u32 v4, vcc_lo, v21, v4
	v_lshlrev_b64 v[16:17], 3, v[16:17]
	v_add_co_ci_u32_e32 v5, vcc_lo, v22, v5, vcc_lo
	v_add_co_u32 v14, vcc_lo, v21, v14
	v_lshlrev_b64 v[18:19], 3, v[32:33]
	v_add_co_ci_u32_e32 v15, vcc_lo, v22, v15, vcc_lo
	v_add_co_u32 v16, vcc_lo, v21, v16
	v_add_co_ci_u32_e32 v17, vcc_lo, v22, v17, vcc_lo
	v_add_co_u32 v18, vcc_lo, v21, v18
	v_add_co_ci_u32_e32 v19, vcc_lo, v22, v19, vcc_lo
	global_store_dwordx2 v[12:13], v[6:7], off
	s_waitcnt lgkmcnt(1)
	global_store_dwordx2 v[4:5], v[0:1], off
	global_store_dwordx2 v[14:15], v[2:3], off
	s_waitcnt lgkmcnt(0)
	global_store_dwordx2 v[16:17], v[8:9], off
	global_store_dwordx2 v[18:19], v[10:11], off
.LBB0_21:
	s_endpgm
	.section	.rodata,"a",@progbits
	.p2align	6, 0x0
	.amdhsa_kernel fft_rtc_fwd_len1666_factors_17_2_7_7_wgs_119_tpt_119_halfLds_sp_ip_CI_unitstride_sbrr_C2R_dirReg
		.amdhsa_group_segment_fixed_size 0
		.amdhsa_private_segment_fixed_size 0
		.amdhsa_kernarg_size 88
		.amdhsa_user_sgpr_count 6
		.amdhsa_user_sgpr_private_segment_buffer 1
		.amdhsa_user_sgpr_dispatch_ptr 0
		.amdhsa_user_sgpr_queue_ptr 0
		.amdhsa_user_sgpr_kernarg_segment_ptr 1
		.amdhsa_user_sgpr_dispatch_id 0
		.amdhsa_user_sgpr_flat_scratch_init 0
		.amdhsa_user_sgpr_private_segment_size 0
		.amdhsa_wavefront_size32 1
		.amdhsa_uses_dynamic_stack 0
		.amdhsa_system_sgpr_private_segment_wavefront_offset 0
		.amdhsa_system_sgpr_workgroup_id_x 1
		.amdhsa_system_sgpr_workgroup_id_y 0
		.amdhsa_system_sgpr_workgroup_id_z 0
		.amdhsa_system_sgpr_workgroup_info 0
		.amdhsa_system_vgpr_workitem_id 0
		.amdhsa_next_free_vgpr 146
		.amdhsa_next_free_sgpr 21
		.amdhsa_reserve_vcc 1
		.amdhsa_reserve_flat_scratch 0
		.amdhsa_float_round_mode_32 0
		.amdhsa_float_round_mode_16_64 0
		.amdhsa_float_denorm_mode_32 3
		.amdhsa_float_denorm_mode_16_64 3
		.amdhsa_dx10_clamp 1
		.amdhsa_ieee_mode 1
		.amdhsa_fp16_overflow 0
		.amdhsa_workgroup_processor_mode 1
		.amdhsa_memory_ordered 1
		.amdhsa_forward_progress 0
		.amdhsa_shared_vgpr_count 0
		.amdhsa_exception_fp_ieee_invalid_op 0
		.amdhsa_exception_fp_denorm_src 0
		.amdhsa_exception_fp_ieee_div_zero 0
		.amdhsa_exception_fp_ieee_overflow 0
		.amdhsa_exception_fp_ieee_underflow 0
		.amdhsa_exception_fp_ieee_inexact 0
		.amdhsa_exception_int_div_zero 0
	.end_amdhsa_kernel
	.text
.Lfunc_end0:
	.size	fft_rtc_fwd_len1666_factors_17_2_7_7_wgs_119_tpt_119_halfLds_sp_ip_CI_unitstride_sbrr_C2R_dirReg, .Lfunc_end0-fft_rtc_fwd_len1666_factors_17_2_7_7_wgs_119_tpt_119_halfLds_sp_ip_CI_unitstride_sbrr_C2R_dirReg
                                        ; -- End function
	.section	.AMDGPU.csdata,"",@progbits
; Kernel info:
; codeLenInByte = 12460
; NumSgprs: 23
; NumVgprs: 146
; ScratchSize: 0
; MemoryBound: 0
; FloatMode: 240
; IeeeMode: 1
; LDSByteSize: 0 bytes/workgroup (compile time only)
; SGPRBlocks: 2
; VGPRBlocks: 18
; NumSGPRsForWavesPerEU: 23
; NumVGPRsForWavesPerEU: 146
; Occupancy: 6
; WaveLimiterHint : 1
; COMPUTE_PGM_RSRC2:SCRATCH_EN: 0
; COMPUTE_PGM_RSRC2:USER_SGPR: 6
; COMPUTE_PGM_RSRC2:TRAP_HANDLER: 0
; COMPUTE_PGM_RSRC2:TGID_X_EN: 1
; COMPUTE_PGM_RSRC2:TGID_Y_EN: 0
; COMPUTE_PGM_RSRC2:TGID_Z_EN: 0
; COMPUTE_PGM_RSRC2:TIDIG_COMP_CNT: 0
	.text
	.p2alignl 6, 3214868480
	.fill 48, 4, 3214868480
	.type	__hip_cuid_a4d9cfd48125fe79,@object ; @__hip_cuid_a4d9cfd48125fe79
	.section	.bss,"aw",@nobits
	.globl	__hip_cuid_a4d9cfd48125fe79
__hip_cuid_a4d9cfd48125fe79:
	.byte	0                               ; 0x0
	.size	__hip_cuid_a4d9cfd48125fe79, 1

	.ident	"AMD clang version 19.0.0git (https://github.com/RadeonOpenCompute/llvm-project roc-6.4.0 25133 c7fe45cf4b819c5991fe208aaa96edf142730f1d)"
	.section	".note.GNU-stack","",@progbits
	.addrsig
	.addrsig_sym __hip_cuid_a4d9cfd48125fe79
	.amdgpu_metadata
---
amdhsa.kernels:
  - .args:
      - .actual_access:  read_only
        .address_space:  global
        .offset:         0
        .size:           8
        .value_kind:     global_buffer
      - .offset:         8
        .size:           8
        .value_kind:     by_value
      - .actual_access:  read_only
        .address_space:  global
        .offset:         16
        .size:           8
        .value_kind:     global_buffer
      - .actual_access:  read_only
        .address_space:  global
        .offset:         24
        .size:           8
        .value_kind:     global_buffer
      - .offset:         32
        .size:           8
        .value_kind:     by_value
      - .actual_access:  read_only
        .address_space:  global
        .offset:         40
        .size:           8
        .value_kind:     global_buffer
      - .actual_access:  read_only
        .address_space:  global
        .offset:         48
        .size:           8
        .value_kind:     global_buffer
      - .offset:         56
        .size:           4
        .value_kind:     by_value
      - .actual_access:  read_only
        .address_space:  global
        .offset:         64
        .size:           8
        .value_kind:     global_buffer
      - .actual_access:  read_only
        .address_space:  global
        .offset:         72
        .size:           8
        .value_kind:     global_buffer
      - .address_space:  global
        .offset:         80
        .size:           8
        .value_kind:     global_buffer
    .group_segment_fixed_size: 0
    .kernarg_segment_align: 8
    .kernarg_segment_size: 88
    .language:       OpenCL C
    .language_version:
      - 2
      - 0
    .max_flat_workgroup_size: 119
    .name:           fft_rtc_fwd_len1666_factors_17_2_7_7_wgs_119_tpt_119_halfLds_sp_ip_CI_unitstride_sbrr_C2R_dirReg
    .private_segment_fixed_size: 0
    .sgpr_count:     23
    .sgpr_spill_count: 0
    .symbol:         fft_rtc_fwd_len1666_factors_17_2_7_7_wgs_119_tpt_119_halfLds_sp_ip_CI_unitstride_sbrr_C2R_dirReg.kd
    .uniform_work_group_size: 1
    .uses_dynamic_stack: false
    .vgpr_count:     146
    .vgpr_spill_count: 0
    .wavefront_size: 32
    .workgroup_processor_mode: 1
amdhsa.target:   amdgcn-amd-amdhsa--gfx1030
amdhsa.version:
  - 1
  - 2
...

	.end_amdgpu_metadata
